;; amdgpu-corpus repo=ROCm/rocFFT kind=compiled arch=gfx1201 opt=O3
	.text
	.amdgcn_target "amdgcn-amd-amdhsa--gfx1201"
	.amdhsa_code_object_version 6
	.protected	bluestein_single_back_len96_dim1_half_op_CI_CI ; -- Begin function bluestein_single_back_len96_dim1_half_op_CI_CI
	.globl	bluestein_single_back_len96_dim1_half_op_CI_CI
	.p2align	8
	.type	bluestein_single_back_len96_dim1_half_op_CI_CI,@function
bluestein_single_back_len96_dim1_half_op_CI_CI: ; @bluestein_single_back_len96_dim1_half_op_CI_CI
; %bb.0:
	s_load_b128 s[16:19], s[0:1], 0x28
	v_lshrrev_b32_e32 v1, 4, v0
	v_mov_b32_e32 v16, 0
	s_mov_b32 s2, exec_lo
	s_delay_alu instid0(VALU_DEP_2) | instskip(SKIP_1) | instid1(VALU_DEP_1)
	v_lshl_or_b32 v15, ttmp9, 3, v1
	s_wait_kmcnt 0x0
	v_cmpx_gt_u64_e64 s[16:17], v[15:16]
	s_cbranch_execz .LBB0_10
; %bb.1:
	s_clause 0x1
	s_load_b128 s[4:7], s[0:1], 0x18
	s_load_b128 s[8:11], s[0:1], 0x0
	v_mul_u32_u24_e32 v57, 0x60, v1
	s_load_b64 s[0:1], s[0:1], 0x38
                                        ; implicit-def: $vgpr26
                                        ; implicit-def: $vgpr73
                                        ; implicit-def: $vgpr74
                                        ; implicit-def: $vgpr28
                                        ; implicit-def: $vgpr75
                                        ; implicit-def: $vgpr76
                                        ; implicit-def: $vgpr30
                                        ; implicit-def: $vgpr77
                                        ; implicit-def: $vgpr78
                                        ; implicit-def: $vgpr32
                                        ; implicit-def: $vgpr79
                                        ; implicit-def: $vgpr80
                                        ; implicit-def: $vgpr81
                                        ; implicit-def: $vgpr82
	s_wait_kmcnt 0x0
	s_load_b128 s[12:15], s[4:5], 0x0
	s_wait_kmcnt 0x0
	v_mad_co_u64_u32 v[2:3], null, s14, v15, 0
	v_and_b32_e32 v45, 15, v0
	s_lshl_b64 s[2:3], s[12:13], 6
	s_delay_alu instid0(VALU_DEP_2) | instskip(NEXT) | instid1(VALU_DEP_2)
	v_mov_b32_e32 v0, v3
	v_mad_co_u64_u32 v[4:5], null, s12, v45, 0
	v_lshlrev_b32_e32 v53, 2, v45
	s_clause 0x5
	global_load_b32 v47, v53, s[8:9]
	global_load_b32 v48, v53, s[8:9] offset:64
	global_load_b32 v46, v53, s[8:9] offset:128
	;; [unrolled: 1-line block ×5, first 2 shown]
	v_mov_b32_e32 v3, v5
	v_mad_co_u64_u32 v[5:6], null, s15, v15, v[0:1]
	v_or_b32_e32 v1, v57, v45
	v_lshl_or_b32 v44, v57, 2, v53
	s_delay_alu instid0(VALU_DEP_2) | instskip(SKIP_2) | instid1(VALU_DEP_1)
	v_lshlrev_b32_e32 v52, 2, v1
	v_mad_co_u64_u32 v[6:7], null, s13, v45, v[3:4]
	v_mov_b32_e32 v3, v5
	v_lshlrev_b64_e32 v[2:3], 2, v[2:3]
	s_delay_alu instid0(VALU_DEP_3) | instskip(NEXT) | instid1(VALU_DEP_1)
	v_mov_b32_e32 v5, v6
	v_lshlrev_b64_e32 v[4:5], 2, v[4:5]
	s_delay_alu instid0(VALU_DEP_3) | instskip(NEXT) | instid1(VALU_DEP_4)
	v_add_co_u32 v0, vcc_lo, s18, v2
	v_add_co_ci_u32_e32 v3, vcc_lo, s19, v3, vcc_lo
	s_delay_alu instid0(VALU_DEP_2) | instskip(SKIP_1) | instid1(VALU_DEP_2)
	v_add_co_u32 v2, vcc_lo, v0, v4
	s_wait_alu 0xfffd
	v_add_co_ci_u32_e32 v3, vcc_lo, v3, v5, vcc_lo
	s_delay_alu instid0(VALU_DEP_2) | instskip(SKIP_1) | instid1(VALU_DEP_2)
	v_add_co_u32 v4, vcc_lo, v2, s2
	s_wait_alu 0xfffd
	v_add_co_ci_u32_e32 v5, vcc_lo, s3, v3, vcc_lo
	s_clause 0x1
	global_load_b32 v0, v[2:3], off
	global_load_b32 v6, v[4:5], off
	v_add_co_u32 v2, vcc_lo, v4, s2
	s_wait_alu 0xfffd
	v_add_co_ci_u32_e32 v3, vcc_lo, s3, v5, vcc_lo
	s_delay_alu instid0(VALU_DEP_2) | instskip(SKIP_1) | instid1(VALU_DEP_2)
	v_add_co_u32 v4, vcc_lo, v2, s2
	s_wait_alu 0xfffd
	v_add_co_ci_u32_e32 v5, vcc_lo, s3, v3, vcc_lo
	s_clause 0x1
	global_load_b32 v7, v[2:3], off
	global_load_b32 v8, v[4:5], off
	v_add_co_u32 v2, vcc_lo, v4, s2
	s_wait_alu 0xfffd
	v_add_co_ci_u32_e32 v3, vcc_lo, s3, v5, vcc_lo
	s_delay_alu instid0(VALU_DEP_2) | instskip(SKIP_1) | instid1(VALU_DEP_2)
	v_add_co_u32 v4, vcc_lo, v2, s2
	s_wait_alu 0xfffd
	v_add_co_ci_u32_e32 v5, vcc_lo, s3, v3, vcc_lo
	global_load_b32 v2, v[2:3], off
	global_load_b32 v3, v[4:5], off
	s_load_b128 s[4:7], s[6:7], 0x0
	v_cmp_gt_u32_e32 vcc_lo, 6, v45
	s_wait_loadcnt 0xb
	v_lshrrev_b32_e32 v51, 16, v47
	s_wait_loadcnt 0xa
	v_lshrrev_b32_e32 v50, 16, v48
	;; [unrolled: 2-line block ×7, first 2 shown]
	v_mul_f16_e32 v4, v51, v0
	s_wait_loadcnt 0x4
	v_lshrrev_b32_e32 v9, 16, v6
	v_mul_f16_e32 v10, v50, v6
	v_mul_f16_e32 v5, v51, v1
	v_fma_f16 v1, v47, v1, -v4
	s_delay_alu instid0(VALU_DEP_4) | instskip(NEXT) | instid1(VALU_DEP_4)
	v_mul_f16_e32 v4, v50, v9
	v_fma_f16 v9, v48, v9, -v10
	s_delay_alu instid0(VALU_DEP_4) | instskip(SKIP_3) | instid1(VALU_DEP_3)
	v_fmac_f16_e32 v5, v47, v0
	s_wait_loadcnt 0x3
	v_lshrrev_b32_e32 v0, 16, v7
	v_mul_f16_e32 v10, v49, v7
	v_pack_b32_f16 v1, v5, v1
	v_fmac_f16_e32 v4, v48, v6
	s_wait_loadcnt 0x2
	v_lshrrev_b32_e32 v6, 16, v8
	v_mul_f16_e32 v5, v49, v0
	v_fma_f16 v0, v46, v0, -v10
	v_mul_f16_e32 v10, v43, v8
	s_delay_alu instid0(VALU_DEP_4) | instskip(NEXT) | instid1(VALU_DEP_4)
	v_mul_f16_e32 v11, v43, v6
	v_fmac_f16_e32 v5, v46, v7
	s_delay_alu instid0(VALU_DEP_3)
	v_fma_f16 v6, v42, v6, -v10
	s_wait_loadcnt 0x1
	v_lshrrev_b32_e32 v7, 16, v2
	s_wait_loadcnt 0x0
	v_lshrrev_b32_e32 v12, 16, v3
	v_mul_f16_e32 v10, v41, v2
	v_mul_f16_e32 v14, v39, v3
	v_fmac_f16_e32 v11, v42, v8
	v_mul_f16_e32 v13, v41, v7
	v_mul_f16_e32 v16, v39, v12
	v_fma_f16 v7, v40, v7, -v10
	v_pack_b32_f16 v0, v5, v0
	s_delay_alu instid0(VALU_DEP_4)
	v_fmac_f16_e32 v13, v40, v2
	v_fma_f16 v2, v38, v12, -v14
	v_fmac_f16_e32 v16, v38, v3
	v_pack_b32_f16 v3, v4, v9
	v_pack_b32_f16 v4, v11, v6
	;; [unrolled: 1-line block ×3, first 2 shown]
	v_mul_u32_u24_e32 v6, 6, v45
	v_pack_b32_f16 v2, v16, v2
	ds_store_2addr_b32 v52, v1, v3 offset1:16
	ds_store_2addr_b32 v44, v0, v4 offset0:32 offset1:48
	ds_store_2addr_b32 v44, v5, v2 offset0:64 offset1:80
	global_wb scope:SCOPE_SE
	s_wait_dscnt 0x0
	s_wait_kmcnt 0x0
	s_barrier_signal -1
	s_barrier_wait -1
	global_inv scope:SCOPE_SE
	ds_load_2addr_b32 v[0:1], v44 offset0:32 offset1:48
	ds_load_2addr_b32 v[2:3], v44 offset0:64 offset1:80
	ds_load_2addr_b32 v[4:5], v52 offset1:16
	v_add_lshl_u32 v54, v57, v6, 2
	v_add_co_u32 v16, s2, s8, v53
	s_wait_alu 0xf1ff
	v_add_co_ci_u32_e64 v17, null, s9, 0, s2
	global_wb scope:SCOPE_SE
	s_wait_dscnt 0x0
	s_barrier_signal -1
	s_barrier_wait -1
	global_inv scope:SCOPE_SE
	v_pk_add_f16 v7, v1, v3
	v_pk_add_f16 v6, v1, v3 neg_lo:[0,1] neg_hi:[0,1]
	v_pk_add_f16 v1, v5, v1
	v_pk_add_f16 v8, v4, v0
	s_delay_alu instid0(VALU_DEP_4) | instskip(NEXT) | instid1(VALU_DEP_3)
	v_pk_fma_f16 v7, v7, 0.5, v5 op_sel_hi:[1,0,1] neg_lo:[1,0,0] neg_hi:[1,0,0]
	v_pk_add_f16 v1, v1, v3
	s_delay_alu instid0(VALU_DEP_2) | instskip(SKIP_4) | instid1(VALU_DEP_4)
	v_pk_fma_f16 v5, 0x3aee, v6, v7 op_sel:[0,0,1] op_sel_hi:[0,1,0]
	v_pk_fma_f16 v6, 0x3aee, v6, v7 op_sel:[0,0,1] op_sel_hi:[0,1,0] neg_lo:[0,1,0] neg_hi:[0,1,0]
	v_pk_add_f16 v7, v0, v2
	v_pk_add_f16 v0, v0, v2 neg_lo:[0,1] neg_hi:[0,1]
	v_pk_add_f16 v2, v8, v2
	v_bfi_b32 v3, 0xffff, v5, v6
	v_lshrrev_b32_e32 v5, 16, v5
	v_pk_fma_f16 v4, v7, 0.5, v4 op_sel_hi:[1,0,1] neg_lo:[1,0,0] neg_hi:[1,0,0]
	v_pk_mul_f16 v0, 0x3aee, v0 op_sel_hi:[0,1]
	v_mul_f16_e32 v10, 0x3aee, v6
	v_pk_mul_f16 v7, v3, 0.5 op_sel_hi:[1,0]
	v_mul_f16_e32 v8, 0xbaee, v5
	v_pk_add_f16 v24, v2, v1
	v_pk_add_f16 v9, v4, v0 op_sel:[0,1] op_sel_hi:[1,0]
	v_pk_add_f16 v0, v4, v0 op_sel:[0,1] op_sel_hi:[1,0] neg_lo:[0,1] neg_hi:[0,1]
	v_pk_fma_f16 v3, 0xbaee3aee, v3, v7 op_sel:[0,0,1] op_sel_hi:[1,1,0] neg_lo:[0,0,1] neg_hi:[0,0,1]
	v_fmac_f16_e32 v8, 0.5, v6
	v_fmac_f16_e32 v10, 0.5, v5
	v_lshrrev_b32_e32 v4, 16, v9
	v_lshrrev_b32_e32 v7, 16, v0
	;; [unrolled: 1-line block ×3, first 2 shown]
	v_pack_b32_f16 v6, v8, v3
	v_bfi_b32 v11, 0xffff, v0, v9
	v_add_f16_e32 v19, v9, v10
	v_sub_f16_e32 v20, v9, v10
	v_add_f16_e32 v70, v4, v5
	v_pk_add_f16 v71, v0, v6 op_sel:[1,0] op_sel_hi:[0,1]
	v_sub_f16_e32 v72, v7, v8
	v_pk_add_f16 v37, v2, v1 neg_lo:[0,1] neg_hi:[0,1]
	v_pk_add_f16 v35, v11, v3 neg_lo:[0,1] neg_hi:[0,1]
	s_delay_alu instid0(VALU_DEP_4)
	v_alignbit_b32 v36, v70, v71, 16
	v_pack_b32_f16 v25, v19, v71
	v_lshrrev_b32_e32 v22, 16, v71
	v_pack_b32_f16 v34, v20, v72
	ds_store_2addr_b64 v54, v[24:25], v[36:37] offset1:1
	ds_store_b64 v54, v[34:35] offset:16
	global_wb scope:SCOPE_SE
	s_wait_dscnt 0x0
	s_barrier_signal -1
	s_barrier_wait -1
	global_inv scope:SCOPE_SE
                                        ; implicit-def: $vgpr34
	s_and_saveexec_b32 s2, vcc_lo
	s_cbranch_execz .LBB0_3
; %bb.2:
	ds_load_2addr_b32 v[18:19], v52 offset1:6
	ds_load_2addr_b32 v[22:23], v52 offset0:12 offset1:18
	ds_load_2addr_b32 v[20:21], v52 offset0:24 offset1:30
	;; [unrolled: 1-line block ×7, first 2 shown]
	s_wait_dscnt 0x7
	v_lshrrev_b32_e32 v71, 16, v19
	s_wait_dscnt 0x6
	v_lshrrev_b32_e32 v70, 16, v22
	;; [unrolled: 2-line block ×4, first 2 shown]
	v_lshrrev_b32_e32 v81, 16, v34
	s_wait_dscnt 0x3
	v_lshrrev_b32_e32 v80, 16, v31
	v_lshrrev_b32_e32 v79, 16, v32
	s_wait_dscnt 0x2
	v_lshrrev_b32_e32 v78, 16, v29
	;; [unrolled: 3-line block ×4, first 2 shown]
	v_lshrrev_b32_e32 v73, 16, v26
	v_dual_mov_b32 v24, v18 :: v_dual_mov_b32 v35, v21
	v_mov_b32_e32 v37, v23
.LBB0_3:
	s_wait_alu 0xfffe
	s_or_b32 exec_lo, exec_lo, s2
	v_mul_lo_u16 v0, v45, 43
	s_delay_alu instid0(VALU_DEP_2) | instskip(SKIP_2) | instid1(VALU_DEP_4)
	v_lshrrev_b32_e32 v18, 16, v37
	v_lshrrev_b32_e32 v21, 16, v35
	;; [unrolled: 1-line block ×3, first 2 shown]
	v_lshrrev_b16 v0, 8, v0
	s_delay_alu instid0(VALU_DEP_1) | instskip(NEXT) | instid1(VALU_DEP_1)
	v_mul_lo_u16 v0, v0, 6
	v_sub_nc_u16 v0, v45, v0
	s_delay_alu instid0(VALU_DEP_1) | instskip(NEXT) | instid1(VALU_DEP_1)
	v_mul_lo_u16 v0, v0, 15
	v_and_b32_e32 v0, 0xff, v0
	s_delay_alu instid0(VALU_DEP_1)
	v_lshlrev_b32_e32 v12, 2, v0
	s_clause 0x3
	global_load_b128 v[0:3], v12, s[10:11]
	global_load_b128 v[4:7], v12, s[10:11] offset:16
	global_load_b128 v[8:11], v12, s[10:11] offset:32
	global_load_b96 v[12:14], v12, s[10:11] offset:48
	s_wait_loadcnt 0x3
	v_lshrrev_b32_e32 v58, 16, v0
	v_lshrrev_b32_e32 v66, 16, v1
	v_lshrrev_b32_e32 v62, 16, v2
	v_lshrrev_b32_e32 v36, 16, v3
	s_wait_loadcnt 0x2
	v_lshrrev_b32_e32 v60, 16, v4
	v_lshrrev_b32_e32 v68, 16, v5
	v_lshrrev_b32_e32 v64, 16, v6
	v_lshrrev_b32_e32 v56, 16, v7
	;; [unrolled: 5-line block ×3, first 2 shown]
	s_wait_loadcnt 0x0
	v_lshrrev_b32_e32 v61, 16, v12
	v_lshrrev_b32_e32 v69, 16, v13
	;; [unrolled: 1-line block ×3, first 2 shown]
	v_mul_f16_e32 v83, v71, v58
	v_mul_f16_e32 v84, v19, v58
	;; [unrolled: 1-line block ×30, first 2 shown]
	v_fma_f16 v19, v19, v0, -v83
	v_fma_f16 v22, v22, v1, -v85
	;; [unrolled: 1-line block ×5, first 2 shown]
	v_fmac_f16_e32 v84, v71, v0
	v_fmac_f16_e32 v86, v70, v1
	;; [unrolled: 1-line block ×5, first 2 shown]
	v_fma_f16 v18, v33, v5, -v93
	v_fmac_f16_e32 v94, v82, v5
	v_fma_f16 v21, v34, v6, -v95
	v_fmac_f16_e32 v96, v81, v6
	v_fma_f16 v31, v31, v7, -v97
	v_fmac_f16_e32 v98, v80, v7
	v_fma_f16 v32, v32, v8, -v99
	v_fmac_f16_e32 v100, v79, v8
	v_fma_f16 v29, v29, v9, -v101
	v_fmac_f16_e32 v102, v78, v9
	v_fma_f16 v30, v30, v10, -v103
	v_fmac_f16_e32 v104, v77, v10
	v_fma_f16 v27, v27, v11, -v105
	v_fmac_f16_e32 v106, v76, v11
	v_fma_f16 v28, v28, v12, -v107
	v_fmac_f16_e32 v108, v75, v12
	v_fma_f16 v25, v25, v13, -v109
	v_fmac_f16_e32 v110, v74, v13
	v_fma_f16 v26, v26, v14, -v111
	v_fmac_f16_e32 v112, v73, v14
	v_sub_f16_e32 v31, v24, v31
	v_sub_f16_e32 v33, v23, v98
	;; [unrolled: 1-line block ×16, first 2 shown]
	v_fma_f16 v76, v90, 2.0, -v34
	v_fma_f16 v77, v86, 2.0, -v70
	;; [unrolled: 1-line block ×8, first 2 shown]
	v_sub_f16_e32 v34, v31, v34
	v_add_f16_e32 v83, v33, v27
	v_sub_f16_e32 v71, v29, v71
	v_add_f16_e32 v25, v70, v25
	;; [unrolled: 2-line block ×4, first 2 shown]
	v_fma_f16 v24, v24, 2.0, -v31
	v_fma_f16 v23, v23, 2.0, -v33
	;; [unrolled: 1-line block ×10, first 2 shown]
	v_sub_f16_e32 v31, v77, v78
	v_fma_f16 v29, v29, 2.0, -v71
	v_fma_f16 v33, v70, 2.0, -v25
	;; [unrolled: 1-line block ×6, first 2 shown]
	v_fmamk_f16 v88, v71, 0x39a8, v34
	v_sub_f16_e32 v20, v24, v20
	v_sub_f16_e32 v76, v23, v76
	;; [unrolled: 1-line block ×7, first 2 shown]
	v_fmamk_f16 v89, v25, 0x39a8, v83
	v_fmamk_f16 v90, v75, 0x39a8, v73
	;; [unrolled: 1-line block ×5, first 2 shown]
	v_fmac_f16_e32 v88, 0xb9a8, v25
	v_fmamk_f16 v25, v72, 0xb9a8, v78
	v_fmamk_f16 v94, v74, 0xb9a8, v87
	v_fma_f16 v24, v24, 2.0, -v20
	v_fma_f16 v23, v23, 2.0, -v76
	;; [unrolled: 1-line block ×8, first 2 shown]
	v_sub_f16_e32 v92, v20, v31
	v_add_f16_e32 v93, v76, v18
	v_fmac_f16_e32 v89, 0x39a8, v71
	v_sub_f16_e32 v95, v35, v32
	v_add_f16_e32 v96, v70, v21
	v_fmac_f16_e32 v90, 0xb9a8, v26
	v_fmac_f16_e32 v91, 0x39a8, v75
	;; [unrolled: 1-line block ×6, first 2 shown]
	v_sub_f16_e32 v31, v24, v22
	v_sub_f16_e32 v26, v23, v30
	v_fma_f16 v32, v20, 2.0, -v92
	v_fma_f16 v29, v76, 2.0, -v93
	;; [unrolled: 1-line block ×4, first 2 shown]
	v_sub_f16_e32 v20, v19, v37
	v_sub_f16_e32 v22, v77, v79
	v_fma_f16 v75, v35, 2.0, -v95
	v_fma_f16 v83, v70, 2.0, -v96
	;; [unrolled: 1-line block ×4, first 2 shown]
	v_fmamk_f16 v21, v95, 0x39a8, v92
	v_fmamk_f16 v76, v96, 0x39a8, v93
	;; [unrolled: 1-line block ×4, first 2 shown]
	v_fma_f16 v82, v85, 2.0, -v27
	v_fma_f16 v81, v86, 2.0, -v28
	v_fma_f16 v85, v78, 2.0, -v25
	v_fma_f16 v86, v87, 2.0, -v94
	v_fma_f16 v79, v24, 2.0, -v31
	v_fma_f16 v80, v23, 2.0, -v26
	v_fma_f16 v24, v19, 2.0, -v20
	v_fma_f16 v37, v77, 2.0, -v22
	v_fmamk_f16 v23, v75, 0xb9a8, v32
	v_fmamk_f16 v77, v83, 0xb9a8, v29
	;; [unrolled: 1-line block ×4, first 2 shown]
	v_sub_f16_e32 v19, v31, v22
	v_add_f16_e32 v35, v26, v20
	v_fmamk_f16 v20, v25, 0x361f, v27
	v_fmamk_f16 v71, v94, 0x361f, v28
	v_fmac_f16_e32 v21, 0xb9a8, v96
	v_fmac_f16_e32 v76, 0x39a8, v95
	;; [unrolled: 1-line block ×4, first 2 shown]
	v_fmamk_f16 v22, v85, 0xbb64, v82
	v_fmamk_f16 v73, v86, 0xbb64, v81
	v_sub_f16_e32 v34, v79, v24
	v_sub_f16_e32 v37, v80, v37
	v_fmac_f16_e32 v23, 0xb9a8, v83
	v_fmac_f16_e32 v77, 0x39a8, v75
	;; [unrolled: 1-line block ×6, first 2 shown]
	v_fma_f16 v24, v92, 2.0, -v21
	v_fma_f16 v78, v93, 2.0, -v76
	;; [unrolled: 1-line block ×3, first 2 shown]
	v_fmac_f16_e32 v22, 0xb61f, v86
	v_fmac_f16_e32 v73, 0x361f, v85
	v_fma_f16 v75, v89, 2.0, -v72
	s_and_saveexec_b32 s2, vcc_lo
	s_cbranch_execz .LBB0_5
; %bb.4:
	v_fma_f16 v82, v82, 2.0, -v22
	v_fma_f16 v79, v79, 2.0, -v34
	;; [unrolled: 1-line block ×12, first 2 shown]
	v_pack_b32_f16 v79, v79, v80
	v_pack_b32_f16 v80, v82, v81
	;; [unrolled: 1-line block ×6, first 2 shown]
	v_perm_b32 v28, v78, v24, 0x5040100
	ds_store_2addr_b32 v52, v79, v80 offset1:6
	ds_store_2addr_b32 v52, v29, v30 offset0:12 offset1:18
	ds_store_b32 v52, v26 offset:96
	ds_store_2addr_b32 v44, v27, v28 offset0:30 offset1:36
	v_perm_b32 v26, v75, v25, 0x5040100
	v_perm_b32 v27, v37, v34, 0x5040100
	;; [unrolled: 1-line block ×9, first 2 shown]
	ds_store_2addr_b32 v44, v26, v27 offset0:42 offset1:48
	ds_store_2addr_b32 v44, v28, v29 offset0:54 offset1:60
	;; [unrolled: 1-line block ×4, first 2 shown]
	ds_store_b32 v44, v79 offset:360
.LBB0_5:
	s_wait_alu 0xfffe
	s_or_b32 exec_lo, exec_lo, s2
	s_add_nc_u64 s[2:3], s[8:9], 0x180
	global_wb scope:SCOPE_SE
	s_wait_dscnt 0x0
	s_barrier_signal -1
	s_barrier_wait -1
	global_inv scope:SCOPE_SE
	s_clause 0x5
	global_load_b32 v26, v[16:17], off offset:384
	global_load_b32 v27, v53, s[2:3] offset:64
	global_load_b32 v28, v53, s[2:3] offset:128
	;; [unrolled: 1-line block ×5, first 2 shown]
	ds_load_2addr_b32 v[16:17], v52 offset1:16
	s_wait_dscnt 0x0
	v_lshrrev_b32_e32 v32, 16, v16
	v_lshrrev_b32_e32 v79, 16, v17
	s_wait_loadcnt 0x5
	v_lshrrev_b32_e32 v33, 16, v26
	s_wait_loadcnt 0x4
	v_lshrrev_b32_e32 v80, 16, v27
	s_delay_alu instid0(VALU_DEP_2) | instskip(SKIP_1) | instid1(VALU_DEP_3)
	v_mul_f16_e32 v81, v32, v33
	v_mul_f16_e32 v33, v16, v33
	;; [unrolled: 1-line block ×4, first 2 shown]
	s_delay_alu instid0(VALU_DEP_4) | instskip(NEXT) | instid1(VALU_DEP_4)
	v_fma_f16 v16, v16, v26, -v81
	v_fmac_f16_e32 v33, v32, v26
	s_delay_alu instid0(VALU_DEP_4) | instskip(NEXT) | instid1(VALU_DEP_4)
	v_fma_f16 v17, v17, v27, -v82
	v_fmac_f16_e32 v80, v79, v27
	s_wait_loadcnt 0x3
	v_lshrrev_b32_e32 v32, 16, v28
	s_wait_loadcnt 0x0
	v_lshrrev_b32_e32 v79, 16, v31
	v_pack_b32_f16 v16, v16, v33
	v_lshl_add_u32 v33, v57, 2, v53
	v_pack_b32_f16 v17, v17, v80
	v_lshrrev_b32_e32 v57, 16, v30
	v_lshrrev_b32_e32 v53, 16, v29
	ds_store_2addr_b32 v52, v16, v17 offset1:16
	ds_load_2addr_b32 v[16:17], v44 offset0:32 offset1:64
	ds_load_b32 v26, v33 offset:192
	ds_load_b32 v27, v44 offset:320
	s_wait_dscnt 0x2
	v_lshrrev_b32_e32 v80, 16, v16
	v_lshrrev_b32_e32 v84, 16, v17
	s_wait_dscnt 0x1
	v_lshrrev_b32_e32 v82, 16, v26
	s_wait_dscnt 0x0
	v_lshrrev_b32_e32 v86, 16, v27
	v_mul_f16_e32 v81, v16, v32
	v_mul_f16_e32 v85, v17, v57
	;; [unrolled: 1-line block ×8, first 2 shown]
	v_fmac_f16_e32 v81, v80, v28
	v_fmac_f16_e32 v85, v84, v30
	v_fma_f16 v16, v16, v28, -v32
	v_fma_f16 v17, v17, v30, -v57
	v_fmac_f16_e32 v83, v82, v29
	v_fma_f16 v26, v26, v29, -v53
	v_fmac_f16_e32 v87, v86, v31
	v_fma_f16 v27, v27, v31, -v79
	v_pack_b32_f16 v16, v16, v81
	v_pack_b32_f16 v17, v17, v85
	;; [unrolled: 1-line block ×3, first 2 shown]
	s_delay_alu instid0(VALU_DEP_4)
	v_pack_b32_f16 v27, v27, v87
	ds_store_2addr_b32 v44, v16, v17 offset0:32 offset1:64
	ds_store_b32 v33, v26 offset:192
	ds_store_b32 v44, v27 offset:320
	global_wb scope:SCOPE_SE
	s_wait_dscnt 0x0
	s_barrier_signal -1
	s_barrier_wait -1
	global_inv scope:SCOPE_SE
	ds_load_2addr_b32 v[16:17], v52 offset1:16
	ds_load_2addr_b32 v[26:27], v44 offset0:32 offset1:64
	ds_load_b32 v28, v33 offset:192
	ds_load_b32 v29, v44 offset:320
	global_wb scope:SCOPE_SE
	s_wait_dscnt 0x0
	s_barrier_signal -1
	s_barrier_wait -1
	global_inv scope:SCOPE_SE
	v_pk_add_f16 v30, v16, v26
	v_pk_add_f16 v32, v17, v28
	;; [unrolled: 1-line block ×4, first 2 shown]
	v_pk_add_f16 v57, v28, v29 neg_lo:[0,1] neg_hi:[0,1]
	v_pk_add_f16 v30, v30, v27
	v_pk_add_f16 v26, v26, v27 neg_lo:[0,1] neg_hi:[0,1]
	v_pk_fma_f16 v17, v31, 0.5, v17 op_sel_hi:[1,0,1] neg_lo:[1,0,0] neg_hi:[1,0,0]
	v_pk_fma_f16 v16, v53, 0.5, v16 op_sel_hi:[1,0,1] neg_lo:[1,0,0] neg_hi:[1,0,0]
	v_pk_add_f16 v29, v32, v29
	s_delay_alu instid0(VALU_DEP_3) | instskip(SKIP_1) | instid1(VALU_DEP_4)
	v_pk_fma_f16 v27, 0x3aee, v57, v17 op_sel:[0,0,1] op_sel_hi:[0,1,0] neg_lo:[0,1,0] neg_hi:[0,1,0]
	v_pk_fma_f16 v17, 0x3aee, v57, v17 op_sel:[0,0,1] op_sel_hi:[0,1,0]
	v_pk_fma_f16 v31, 0x3aee, v26, v16 op_sel:[0,0,1] op_sel_hi:[0,1,0] neg_lo:[0,1,0] neg_hi:[0,1,0]
	v_pk_fma_f16 v16, 0x3aee, v26, v16 op_sel:[0,0,1] op_sel_hi:[0,1,0]
	v_pk_add_f16 v28, v30, v29
	v_pk_mul_f16 v26, 0x3aee, v27 op_sel_hi:[0,1]
	v_lshrrev_b32_e32 v32, 16, v27
	v_lshrrev_b32_e32 v53, 16, v17
	v_mul_f16_e32 v27, -0.5, v27
	v_mul_f16_e32 v57, 0x3aee, v17
	v_pk_fma_f16 v79, 0xb8003800, v17, v26 op_sel:[0,0,1] op_sel_hi:[1,1,0]
	v_pk_fma_f16 v17, 0xb8003800, v17, v26 op_sel:[0,0,1] op_sel_hi:[1,1,0] neg_lo:[0,0,1] neg_hi:[0,0,1]
	v_lshrrev_b32_e32 v26, 16, v31
	v_fmac_f16_e32 v27, 0x3aee, v53
	v_fma_f16 v32, v32, 0.5, -v57
	v_alignbit_b32 v53, v16, v31, 16
	v_bfi_b32 v57, 0xffff, v79, v17
	v_alignbit_b32 v81, v31, v16, 16
	v_add_f16_e32 v80, v31, v27
	v_pack_b32_f16 v31, v32, v79
	v_alignbit_b32 v17, v27, v17, 16
	v_pk_add_f16 v57, v16, v57
	v_add_f16_e32 v27, v26, v32
	v_pk_add_f16 v32, v30, v29 neg_lo:[0,1] neg_hi:[0,1]
	v_pk_add_f16 v16, v53, v31 neg_lo:[0,1] neg_hi:[0,1]
	;; [unrolled: 1-line block ×3, first 2 shown]
	v_alignbit_b32 v31, v80, v57, 16
	v_pack_b32_f16 v29, v27, v57
	v_lshrrev_b32_e32 v30, 16, v57
	v_lshrrev_b32_e32 v53, 16, v16
	;; [unrolled: 1-line block ×3, first 2 shown]
	ds_store_2addr_b64 v54, v[28:29], v[31:32] offset1:1
	ds_store_b64 v54, v[16:17] offset:16
	global_wb scope:SCOPE_SE
	s_wait_dscnt 0x0
	s_barrier_signal -1
	s_barrier_wait -1
	global_inv scope:SCOPE_SE
	s_and_saveexec_b32 s2, vcc_lo
	s_cbranch_execz .LBB0_7
; %bb.6:
	ds_load_2addr_b32 v[26:27], v52 offset1:6
	ds_load_2addr_b32 v[30:31], v52 offset0:12 offset1:18
	ds_load_2addr_b32 v[16:17], v52 offset0:24 offset1:30
	;; [unrolled: 1-line block ×3, first 2 shown]
	ds_load_b32 v34, v33 offset:192
	ds_load_2addr_b32 v[22:23], v52 offset0:54 offset1:60
	ds_load_2addr_b32 v[18:19], v52 offset0:66 offset1:72
	;; [unrolled: 1-line block ×3, first 2 shown]
	ds_load_b32 v70, v52 offset:360
	s_wait_dscnt 0x8
	v_lshrrev_b32_e32 v57, 16, v27
	s_wait_dscnt 0x7
	v_lshrrev_b32_e32 v80, 16, v30
	;; [unrolled: 2-line block ×3, first 2 shown]
	v_lshrrev_b32_e32 v79, 16, v17
	s_wait_dscnt 0x5
	v_lshrrev_b32_e32 v78, 16, v24
	v_lshrrev_b32_e32 v75, 16, v25
	s_wait_dscnt 0x4
	v_lshrrev_b32_e32 v37, 16, v34
	s_wait_dscnt 0x3
	v_lshrrev_b32_e32 v73, 16, v22
	v_lshrrev_b32_e32 v77, 16, v23
	s_wait_dscnt 0x2
	v_lshrrev_b32_e32 v74, 16, v18
	;; [unrolled: 3-line block ×4, first 2 shown]
	v_mov_b32_e32 v28, v26
	v_mov_b32_e32 v32, v31
.LBB0_7:
	s_wait_alu 0xfffe
	s_or_b32 exec_lo, exec_lo, s2
	s_and_saveexec_b32 s2, vcc_lo
	s_cbranch_execz .LBB0_9
; %bb.8:
	v_mul_f16_e32 v26, v66, v30
	v_mul_f16_e32 v29, v67, v23
	;; [unrolled: 1-line block ×5, first 2 shown]
	v_fma_f16 v26, v1, v80, -v26
	v_fma_f16 v29, v9, v77, -v29
	v_fmac_f16_e32 v54, v13, v21
	v_mul_f16_e32 v21, v69, v21
	v_fmac_f16_e32 v31, v5, v24
	v_fma_f16 v5, v5, v78, -v68
	v_sub_f16_e32 v24, v26, v29
	v_mul_f16_e32 v29, v66, v80
	v_mul_f16_e32 v66, v67, v77
	v_fma_f16 v13, v13, v76, -v21
	v_lshrrev_b32_e32 v67, 16, v32
	v_mul_f16_e32 v76, v64, v75
	v_mul_f16_e32 v68, v62, v32
	;; [unrolled: 1-line block ×5, first 2 shown]
	v_fmac_f16_e32 v76, v6, v25
	v_mul_f16_e32 v25, v64, v25
	v_fma_f16 v68, v2, v67, -v68
	v_mul_f16_e32 v83, v60, v79
	v_fmac_f16_e32 v62, v2, v32
	v_mul_f16_e32 v2, v63, v74
	v_fma_f16 v6, v6, v75, -v25
	v_mul_f16_e32 v25, v61, v20
	v_mul_f16_e32 v32, v58, v57
	v_fmac_f16_e32 v29, v1, v30
	v_fmac_f16_e32 v66, v9, v23
	v_mul_f16_e32 v1, v36, v16
	v_mul_f16_e32 v9, v55, v19
	;; [unrolled: 1-line block ×4, first 2 shown]
	v_fma_f16 v69, v10, v74, -v69
	v_mul_f16_e32 v82, v59, v22
	v_fma_f16 v80, v0, v57, -v80
	v_mul_f16_e32 v64, v65, v70
	v_fmac_f16_e32 v83, v4, v17
	v_mul_f16_e32 v65, v61, v71
	v_mul_f16_e32 v17, v60, v17
	;; [unrolled: 1-line block ×3, first 2 shown]
	v_fmac_f16_e32 v2, v10, v18
	v_fma_f16 v10, v12, v71, -v25
	v_fmac_f16_e32 v32, v0, v27
	v_mul_f16_e32 v25, v36, v53
	v_mul_f16_e32 v27, v55, v35
	v_fma_f16 v1, v3, v53, -v1
	v_fma_f16 v9, v11, v35, -v9
	v_fmac_f16_e32 v21, v7, v34
	v_fmac_f16_e32 v77, v14, v70
	v_fma_f16 v82, v8, v73, -v82
	v_fma_f16 v14, v14, v72, -v64
	;; [unrolled: 1-line block ×3, first 2 shown]
	v_fmac_f16_e32 v57, v8, v22
	v_fmac_f16_e32 v65, v12, v20
	v_mul_f16_e32 v22, v56, v34
	v_fmac_f16_e32 v25, v3, v16
	v_fmac_f16_e32 v27, v11, v19
	v_sub_f16_e32 v13, v5, v13
	v_sub_f16_e32 v23, v29, v66
	;; [unrolled: 1-line block ×11, first 2 shown]
	v_fma_f16 v7, v7, v37, -v22
	v_lshrrev_b32_e32 v3, 16, v28
	v_sub_f16_e32 v16, v25, v27
	v_sub_f16_e32 v54, v31, v54
	v_add_f16_e32 v66, v13, v23
	v_add_f16_e32 v78, v9, v21
	v_sub_f16_e32 v77, v76, v77
	v_add_f16_e32 v18, v0, v2
	v_add_f16_e32 v20, v8, v10
	v_sub_f16_e32 v34, v14, v17
	v_sub_f16_e32 v7, v3, v7
	v_fma_f16 v19, v26, 2.0, -v24
	v_fma_f16 v5, v5, 2.0, -v13
	;; [unrolled: 1-line block ×8, first 2 shown]
	v_sub_f16_e32 v30, v24, v54
	v_fmamk_f16 v81, v66, 0x39a8, v78
	v_sub_f16_e32 v12, v69, v77
	v_fmamk_f16 v35, v18, 0x39a8, v20
	v_sub_f16_e32 v16, v7, v16
	v_sub_f16_e32 v5, v19, v5
	;; [unrolled: 1-line block ×3, first 2 shown]
	v_fma_f16 v26, v80, 2.0, -v14
	v_fma_f16 v4, v4, 2.0, -v8
	;; [unrolled: 1-line block ×4, first 2 shown]
	v_sub_f16_e32 v0, v27, v0
	v_sub_f16_e32 v17, v6, v17
	v_fmac_f16_e32 v81, 0x39a8, v30
	v_fmamk_f16 v11, v12, 0x39a8, v34
	v_fmac_f16_e32 v35, 0x39a8, v12
	v_fmamk_f16 v32, v30, 0x39a8, v16
	v_add_f16_e32 v36, v5, v22
	v_sub_f16_e32 v4, v26, v4
	v_sub_f16_e32 v28, v8, v28
	v_add_f16_e32 v37, v0, v17
	v_fma_f16 v3, v3, 2.0, -v7
	v_fma_f16 v1, v1, 2.0, -v9
	v_fma_f16 v29, v29, 2.0, -v23
	v_fma_f16 v31, v31, 2.0, -v54
	v_fma_f16 v24, v24, 2.0, -v30
	v_fma_f16 v21, v21, 2.0, -v78
	v_fma_f16 v23, v23, 2.0, -v66
	v_fma_f16 v14, v14, 2.0, -v34
	v_fma_f16 v12, v69, 2.0, -v12
	v_fma_f16 v2, v2, 2.0, -v18
	v_fma_f16 v10, v10, 2.0, -v20
	v_fma_f16 v7, v7, 2.0, -v16
	v_fmac_f16_e32 v11, 0xb9a8, v18
	v_fmamk_f16 v25, v35, 0x3b64, v81
	v_fmac_f16_e32 v32, 0xb9a8, v66
	v_sub_f16_e32 v53, v4, v28
	v_sub_f16_e32 v1, v3, v1
	;; [unrolled: 1-line block ×3, first 2 shown]
	v_fmamk_f16 v30, v23, 0xb9a8, v21
	v_fmamk_f16 v31, v12, 0xb9a8, v14
	;; [unrolled: 1-line block ×4, first 2 shown]
	v_fma_f16 v13, v13, 2.0, -v22
	v_fma_f16 v6, v6, 2.0, -v17
	;; [unrolled: 1-line block ×6, first 2 shown]
	v_fmac_f16_e32 v25, 0x361f, v11
	v_fmamk_f16 v55, v37, 0x39a8, v36
	v_fmamk_f16 v56, v11, 0x3b64, v32
	v_sub_f16_e32 v58, v1, v18
	v_fmac_f16_e32 v30, 0x39a8, v24
	v_fmac_f16_e32 v31, 0xb9a8, v2
	;; [unrolled: 1-line block ×4, first 2 shown]
	v_fma_f16 v18, v29, 2.0, -v18
	v_fma_f16 v26, v26, 2.0, -v4
	v_fma_f16 v0, v27, 2.0, -v0
	v_fma_f16 v3, v3, 2.0, -v1
	v_fma_f16 v5, v19, 2.0, -v5
	v_fma_f16 v8, v8, 2.0, -v28
	v_fma_f16 v11, v34, 2.0, -v11
	v_fmamk_f16 v28, v20, 0xb61f, v60
	v_fma_f16 v16, v16, 2.0, -v32
	v_fma_f16 v4, v4, 2.0, -v53
	v_fmamk_f16 v34, v17, 0xb9a8, v22
	v_fmac_f16_e32 v55, 0x39a8, v53
	v_sub_f16_e32 v18, v13, v18
	v_sub_f16_e32 v0, v26, v0
	;; [unrolled: 1-line block ×4, first 2 shown]
	v_fmac_f16_e32 v28, 0x3b64, v11
	v_fmamk_f16 v11, v11, 0xb61f, v16
	v_fmac_f16_e32 v34, 0x39a8, v4
	v_fma_f16 v21, v21, 2.0, -v30
	v_fma_f16 v10, v10, 2.0, -v54
	;; [unrolled: 1-line block ×6, first 2 shown]
	v_add_f16_e32 v59, v18, v0
	v_sub_f16_e32 v36, v5, v8
	v_fmac_f16_e32 v11, 0xbb64, v20
	v_fma_f16 v20, v22, 2.0, -v34
	v_fmamk_f16 v22, v10, 0xbb64, v21
	v_fma_f16 v13, v13, 2.0, -v18
	v_fma_f16 v6, v6, 2.0, -v8
	;; [unrolled: 1-line block ×4, first 2 shown]
	v_fmamk_f16 v8, v14, 0xbb64, v7
	v_fmamk_f16 v4, v4, 0xb9a8, v1
	;; [unrolled: 1-line block ×5, first 2 shown]
	v_fmac_f16_e32 v22, 0x361f, v14
	v_sub_f16_e32 v6, v13, v6
	v_sub_f16_e32 v0, v3, v0
	v_fmac_f16_e32 v8, 0xb61f, v10
	v_fmac_f16_e32 v4, 0xb9a8, v17
	;; [unrolled: 1-line block ×6, first 2 shown]
	v_fma_f16 v37, v60, 2.0, -v28
	v_fma_f16 v10, v21, 2.0, -v22
	;; [unrolled: 1-line block ×13, first 2 shown]
	v_pack_b32_f16 v3, v13, v3
	v_pack_b32_f16 v7, v10, v7
	;; [unrolled: 1-line block ×3, first 2 shown]
	v_fma_f16 v14, v32, 2.0, -v56
	v_pack_b32_f16 v1, v20, v1
	v_pack_b32_f16 v5, v35, v5
	v_pack_b32_f16 v13, v27, v29
	v_pack_b32_f16 v2, v2, v19
	ds_store_2addr_b32 v52, v3, v7 offset1:6
	ds_store_2addr_b32 v52, v1, v10 offset0:12 offset1:18
	ds_store_b32 v52, v5 offset:96
	ds_store_2addr_b32 v44, v13, v2 offset0:30 offset1:36
	v_pack_b32_f16 v1, v9, v14
	v_pack_b32_f16 v0, v6, v0
	;; [unrolled: 1-line block ×9, first 2 shown]
	ds_store_b32 v44, v1 offset:168
	ds_store_b32 v33, v0 offset:192
	ds_store_2addr_b32 v44, v2, v3 offset0:54 offset1:60
	ds_store_2addr_b32 v44, v4, v5 offset0:66 offset1:72
	ds_store_2addr_b32 v44, v6, v7 offset0:78 offset1:84
	ds_store_b32 v44, v8 offset:360
.LBB0_9:
	s_wait_alu 0xfffe
	s_or_b32 exec_lo, exec_lo, s2
	global_wb scope:SCOPE_SE
	s_wait_dscnt 0x0
	s_barrier_signal -1
	s_barrier_wait -1
	global_inv scope:SCOPE_SE
	ds_load_2addr_b32 v[2:3], v52 offset1:16
	ds_load_2addr_b32 v[0:1], v44 offset0:32 offset1:64
	s_mov_b32 s8, 0x55555555
	s_mov_b32 s9, 0x3f855555
	v_mad_co_u64_u32 v[16:17], null, s4, v45, 0
	ds_load_b32 v22, v33 offset:192
	s_wait_dscnt 0x2
	v_lshrrev_b32_e32 v4, 16, v2
	v_mul_f16_e32 v5, v51, v2
	v_lshrrev_b32_e32 v6, 16, v3
	v_mul_f16_e32 v7, v50, v3
	s_wait_dscnt 0x1
	v_lshrrev_b32_e32 v12, 16, v0
	v_mul_f16_e32 v8, v51, v4
	v_fma_f16 v5, v47, v4, -v5
	v_mul_f16_e32 v9, v50, v6
	v_fma_f16 v4, v48, v6, -v7
	v_mul_f16_e32 v10, v49, v12
	v_fmac_f16_e32 v8, v47, v2
	v_cvt_f32_f16_e32 v5, v5
	v_fmac_f16_e32 v9, v48, v3
	v_cvt_f32_f16_e32 v2, v4
	;; [unrolled: 2-line block ×3, first 2 shown]
	v_cvt_f64_f32_e32 v[4:5], v5
	v_mul_f16_e32 v0, v49, v0
	v_cvt_f64_f32_e32 v[6:7], v2
	v_cvt_f32_f16_e32 v10, v10
	v_cvt_f64_f32_e32 v[2:3], v8
	v_cvt_f32_f16_e32 v8, v9
	v_fma_f16 v0, v46, v12, -v0
	v_mad_co_u64_u32 v[12:13], null, s6, v15, 0
	v_cvt_f64_f32_e32 v[10:11], v10
	s_delay_alu instid0(VALU_DEP_4) | instskip(NEXT) | instid1(VALU_DEP_4)
	v_cvt_f64_f32_e32 v[8:9], v8
	v_cvt_f32_f16_e32 v0, v0
	s_delay_alu instid0(VALU_DEP_1) | instskip(SKIP_1) | instid1(VALU_DEP_1)
	v_cvt_f64_f32_e32 v[18:19], v0
	v_dual_mov_b32 v0, v13 :: v_dual_mov_b32 v13, v17
	v_mad_co_u64_u32 v[14:15], null, s7, v15, v[0:1]
	s_delay_alu instid0(VALU_DEP_1)
	v_mad_co_u64_u32 v[20:21], null, s5, v45, v[13:14]
	ds_load_b32 v21, v44 offset:320
	s_wait_dscnt 0x1
	v_lshrrev_b32_e32 v0, 16, v22
	s_wait_alu 0xfffe
	v_mul_f64_e32 v[4:5], s[8:9], v[4:5]
	v_mov_b32_e32 v17, v20
	v_mul_f64_e32 v[6:7], s[8:9], v[6:7]
	v_mul_f16_e32 v20, v43, v0
	v_mul_f64_e32 v[2:3], s[8:9], v[2:3]
	s_delay_alu instid0(VALU_DEP_2)
	v_fmac_f16_e32 v20, v42, v22
	v_mul_f64_e32 v[10:11], s[8:9], v[10:11]
	v_mul_f64_e32 v[8:9], s[8:9], v[8:9]
	v_and_or_b32 v4, 0x1ff, v5, v4
	v_and_or_b32 v6, 0x1ff, v7, v6
	v_bfe_u32 v23, v7, 20, 11
	v_and_or_b32 v2, 0x1ff, v3, v2
	v_lshrrev_b32_e32 v24, 8, v3
	v_bfe_u32 v25, v3, 20, 11
	v_lshrrev_b32_e32 v3, 16, v3
	v_sub_nc_u32_e32 v29, 0x3f1, v23
	v_and_or_b32 v10, 0x1ff, v11, v10
	v_bfe_u32 v28, v9, 20, 11
	v_mov_b32_e32 v13, v14
	v_lshlrev_b64_e32 v[14:15], 2, v[16:17]
	v_cvt_f32_f16_e32 v16, v20
	v_and_or_b32 v8, 0x1ff, v9, v8
	v_lshrrev_b32_e32 v20, 8, v7
	v_lshlrev_b64_e32 v[12:13], 2, v[12:13]
	v_lshrrev_b32_e32 v27, 8, v9
	v_sub_nc_u32_e32 v32, 0x3f1, v25
	v_add_nc_u32_e32 v25, 0xfffffc10, v25
	v_lshrrev_b32_e32 v30, 8, v11
	v_bfe_u32 v31, v11, 20, 11
	v_add_co_u32 v12, vcc_lo, s0, v12
	s_wait_alu 0xfffd
	v_add_co_ci_u32_e32 v13, vcc_lo, s1, v13, vcc_lo
	v_lshrrev_b32_e32 v7, 16, v7
	s_delay_alu instid0(VALU_DEP_3) | instskip(SKIP_1) | instid1(VALU_DEP_3)
	v_add_co_u32 v12, vcc_lo, v12, v14
	s_wait_alu 0xfffd
	v_add_co_ci_u32_e32 v13, vcc_lo, v13, v15, vcc_lo
	v_cmp_ne_u32_e32 vcc_lo, 0, v4
	v_cvt_f64_f32_e32 v[14:15], v16
	v_mul_f64_e32 v[16:17], s[8:9], v[18:19]
	v_lshrrev_b32_e32 v18, 8, v5
	v_bfe_u32 v19, v5, 20, 11
	s_wait_alu 0xfffd
	v_cndmask_b32_e64 v4, 0, 1, vcc_lo
	v_cmp_ne_u32_e32 vcc_lo, 0, v6
	v_lshrrev_b32_e32 v5, 16, v5
	v_lshrrev_b32_e32 v11, 16, v11
	v_sub_nc_u32_e32 v26, 0x3f1, v19
	v_and_or_b32 v4, 0xffe, v18, v4
	s_wait_alu 0xfffd
	v_cndmask_b32_e64 v6, 0, 1, vcc_lo
	v_cmp_ne_u32_e32 vcc_lo, 0, v2
	v_add_nc_u32_e32 v19, 0xfffffc10, v19
	v_med3_i32 v18, v26, 0, 13
	v_sub_nc_u32_e32 v26, 0x3f1, v28
	v_and_or_b32 v6, 0xffe, v20, v6
	s_wait_alu 0xfffd
	v_cndmask_b32_e64 v2, 0, 1, vcc_lo
	v_cmp_ne_u32_e32 vcc_lo, 0, v8
	v_med3_i32 v20, v29, 0, 13
	v_or_b32_e32 v29, 0x1000, v4
	v_add_nc_u32_e32 v28, 0xfffffc10, v28
	v_and_or_b32 v2, 0xffe, v24, v2
	s_wait_alu 0xfffd
	v_cndmask_b32_e64 v8, 0, 1, vcc_lo
	v_cmp_ne_u32_e32 vcc_lo, 0, v4
	v_med3_i32 v24, v32, 0, 13
	v_lshl_or_b32 v32, v19, 12, v4
	v_or_b32_e32 v34, 0x1000, v2
	v_and_or_b32 v8, 0xffe, v27, v8
	s_wait_alu 0xfffd
	v_cndmask_b32_e64 v4, 0, 1, vcc_lo
	v_cmp_ne_u32_e32 vcc_lo, 0, v2
	v_lshrrev_b32_e32 v36, v18, v29
	v_or_b32_e32 v27, 0x1000, v6
	v_lshl_or_b32 v35, v25, 12, v2
	v_lshrrev_b32_e32 v46, v24, v34
	s_wait_alu 0xfffd
	v_cndmask_b32_e64 v2, 0, 1, vcc_lo
	v_cmp_ne_u32_e32 vcc_lo, 0, v8
	v_lshlrev_b32_e32 v18, v18, v36
	v_med3_i32 v26, v26, 0, 13
	v_or_b32_e32 v37, 0x1000, v8
	v_lshl_or_b32 v44, v28, 12, v8
	s_wait_alu 0xfffd
	v_cndmask_b32_e64 v8, 0, 1, vcc_lo
	v_lshrrev_b32_e32 v45, v20, v27
	v_lshlrev_b32_e32 v24, v24, v46
	v_cmp_ne_u32_e32 vcc_lo, v18, v29
	v_lshrrev_b32_e32 v47, v26, v37
	v_lshl_or_b32 v4, v4, 9, 0x7c00
	v_lshlrev_b32_e32 v20, v20, v45
	v_lshl_or_b32 v2, v2, 9, 0x7c00
	s_wait_alu 0xfffd
	v_cndmask_b32_e64 v18, 0, 1, vcc_lo
	v_cmp_ne_u32_e32 vcc_lo, v24, v34
	v_lshlrev_b32_e32 v26, v26, v47
	v_lshl_or_b32 v8, v8, 9, 0x7c00
	s_delay_alu instid0(VALU_DEP_4) | instskip(SKIP_3) | instid1(VALU_DEP_2)
	v_or_b32_e32 v18, v36, v18
	s_wait_alu 0xfffd
	v_cndmask_b32_e64 v24, 0, 1, vcc_lo
	v_cmp_ne_u32_e32 vcc_lo, v20, v27
	v_or_b32_e32 v24, v46, v24
	s_wait_alu 0xfffd
	v_cndmask_b32_e64 v20, 0, 1, vcc_lo
	v_cmp_ne_u32_e32 vcc_lo, v26, v37
	s_delay_alu instid0(VALU_DEP_2) | instskip(SKIP_3) | instid1(VALU_DEP_2)
	v_or_b32_e32 v20, v45, v20
	s_wait_alu 0xfffd
	v_cndmask_b32_e64 v26, 0, 1, vcc_lo
	v_cmp_gt_i32_e32 vcc_lo, 1, v19
	v_or_b32_e32 v26, v47, v26
	s_wait_alu 0xfffd
	v_cndmask_b32_e32 v18, v32, v18, vcc_lo
	v_cmp_gt_i32_e32 vcc_lo, 1, v25
	v_add_nc_u32_e32 v23, 0xfffffc10, v23
	s_wait_alu 0xfffd
	s_delay_alu instid0(VALU_DEP_3) | instskip(NEXT) | instid1(VALU_DEP_2)
	v_dual_cndmask_b32 v24, v35, v24 :: v_dual_and_b32 v27, 7, v18
	v_lshl_or_b32 v33, v23, 12, v6
	v_cmp_gt_i32_e32 vcc_lo, 1, v23
	v_lshrrev_b32_e32 v18, 2, v18
	s_delay_alu instid0(VALU_DEP_4)
	v_cmp_lt_i32_e64 s1, 5, v27
	v_cmp_eq_u32_e64 s2, 3, v27
	s_wait_alu 0xfffd
	v_cndmask_b32_e32 v20, v33, v20, vcc_lo
	v_cmp_gt_i32_e32 vcc_lo, 1, v28
	v_and_b32_e32 v29, 7, v24
	v_lshrrev_b32_e32 v24, 2, v24
	s_wait_alu 0xfffd
	v_cndmask_b32_e32 v26, v44, v26, vcc_lo
	s_delay_alu instid0(VALU_DEP_3) | instskip(SKIP_1) | instid1(VALU_DEP_3)
	v_cmp_lt_i32_e32 vcc_lo, 5, v29
	v_cmp_eq_u32_e64 s0, 3, v29
	v_and_b32_e32 v27, 7, v26
	v_lshrrev_b32_e32 v26, 2, v26
	s_delay_alu instid0(VALU_DEP_3)
	s_or_b32 vcc_lo, s0, vcc_lo
	v_cmp_gt_i32_e64 s0, 31, v25
	s_wait_alu 0xfffe
	v_add_co_ci_u32_e32 v24, vcc_lo, 0, v24, vcc_lo
	s_or_b32 vcc_lo, s2, s1
	v_cmp_gt_i32_e64 s1, 31, v19
	s_wait_alu 0xfffe
	v_add_co_ci_u32_e32 v18, vcc_lo, 0, v18, vcc_lo
	v_cmp_lt_i32_e32 vcc_lo, 5, v27
	v_cndmask_b32_e64 v24, 0x7c00, v24, s0
	v_cmp_eq_u32_e64 s0, 3, v27
	s_wait_alu 0xf1ff
	v_cndmask_b32_e64 v18, 0x7c00, v18, s1
	v_cmp_eq_u32_e64 s1, 0x40f, v25
	s_lshl_b64 s[2:3], s[4:5], 6
	s_or_b32 vcc_lo, s0, vcc_lo
	v_cmp_eq_u32_e64 s0, 0x40f, v28
	s_delay_alu instid0(VALU_DEP_2) | instskip(SKIP_3) | instid1(VALU_DEP_3)
	v_cndmask_b32_e64 v2, v24, v2, s1
	s_wait_alu 0xfffe
	v_add_co_ci_u32_e32 v24, vcc_lo, 0, v26, vcc_lo
	v_cmp_eq_u32_e32 vcc_lo, 0x40f, v19
	v_and_or_b32 v2, 0x8000, v3, v2
	v_and_b32_e32 v3, 7, v20
	s_wait_alu 0xfffd
	v_cndmask_b32_e32 v4, v18, v4, vcc_lo
	v_cmp_gt_i32_e32 vcc_lo, 31, v28
	v_and_b32_e32 v2, 0xffff, v2
	s_delay_alu instid0(VALU_DEP_3) | instskip(SKIP_3) | instid1(VALU_DEP_3)
	v_and_or_b32 v4, 0x8000, v5, v4
	s_wait_alu 0xfffd
	v_cndmask_b32_e32 v18, 0x7c00, v24, vcc_lo
	v_cmp_ne_u32_e32 vcc_lo, 0, v10
	v_lshl_or_b32 v10, v4, 16, v2
	s_wait_alu 0xf1ff
	s_delay_alu instid0(VALU_DEP_3)
	v_cndmask_b32_e64 v8, v18, v8, s0
	s_wait_alu 0xfffd
	v_cndmask_b32_e64 v5, 0, 1, vcc_lo
	v_cmp_lt_i32_e32 vcc_lo, 5, v3
	v_cmp_eq_u32_e64 s0, 3, v3
	v_lshrrev_b32_e32 v3, 2, v20
	v_sub_nc_u32_e32 v4, 0x3f1, v31
	v_and_or_b32 v18, 0xffe, v30, v5
	v_lshrrev_b32_e32 v2, 16, v9
	s_or_b32 vcc_lo, s0, vcc_lo
	v_lshrrev_b32_e32 v20, 8, v17
	s_wait_alu 0xfffe
	v_add_co_ci_u32_e32 v3, vcc_lo, 0, v3, vcc_lo
	v_cmp_ne_u32_e32 vcc_lo, 0, v6
	v_or_b32_e32 v6, 0x1000, v18
	v_med3_i32 v4, v4, 0, 13
	v_and_or_b32 v8, 0x8000, v2, v8
	v_and_or_b32 v2, 0x1ff, v17, v16
	s_wait_alu 0xfffd
	v_cndmask_b32_e64 v5, 0, 1, vcc_lo
	v_cmp_gt_i32_e32 vcc_lo, 31, v23
	v_lshrrev_b32_e32 v9, v4, v6
	global_store_b32 v[12:13], v10, off
	v_lshl_or_b32 v5, v5, 9, 0x7c00
	s_wait_alu 0xfffd
	v_cndmask_b32_e32 v3, 0x7c00, v3, vcc_lo
	v_cmp_eq_u32_e32 vcc_lo, 0x40f, v23
	v_lshlrev_b32_e32 v4, v4, v9
	s_wait_alu 0xfffd
	s_delay_alu instid0(VALU_DEP_3)
	v_cndmask_b32_e32 v16, v3, v5, vcc_lo
	v_mul_f16_e32 v5, v43, v22
	v_cmp_ne_u32_e32 vcc_lo, 0, v2
	v_bfe_u32 v22, v17, 20, 11
	v_mul_f64_e32 v[2:3], s[8:9], v[14:15]
	v_add_nc_u32_e32 v14, 0xfffffc10, v31
	v_fma_f16 v0, v42, v0, -v5
	s_wait_alu 0xfffd
	v_cndmask_b32_e64 v19, 0, 1, vcc_lo
	v_cmp_ne_u32_e32 vcc_lo, v4, v6
	v_sub_nc_u32_e32 v6, 0x3f1, v22
	v_cmp_eq_u32_e64 s1, 0x40f, v14
	v_cvt_f32_f16_e32 v0, v0
	v_and_or_b32 v15, 0xffe, v20, v19
	s_wait_alu 0xfffd
	v_cndmask_b32_e64 v4, 0, 1, vcc_lo
	v_lshl_or_b32 v19, v14, 12, v18
	v_cmp_gt_i32_e32 vcc_lo, 1, v14
	v_or_b32_e32 v20, 0x1000, v15
	s_delay_alu instid0(VALU_DEP_4)
	v_or_b32_e32 v9, v9, v4
	v_cvt_f64_f32_e32 v[4:5], v0
	v_med3_i32 v0, v6, 0, 13
	v_and_or_b32 v6, 0x8000, v7, v16
	s_wait_alu 0xfffd
	v_dual_cndmask_b32 v8, v19, v9 :: v_dual_and_b32 v7, 0xffff, v8
	s_delay_alu instid0(VALU_DEP_3) | instskip(NEXT) | instid1(VALU_DEP_2)
	v_lshrrev_b32_e32 v9, v0, v20
	v_lshl_or_b32 v16, v6, 16, v7
	s_delay_alu instid0(VALU_DEP_3) | instskip(SKIP_1) | instid1(VALU_DEP_4)
	v_and_b32_e32 v10, 7, v8
	v_add_co_u32 v6, vcc_lo, v12, s2
	v_lshlrev_b32_e32 v0, v0, v9
	s_wait_alu 0xfffd
	v_add_co_ci_u32_e32 v7, vcc_lo, s3, v13, vcc_lo
	v_lshrrev_b32_e32 v12, 16, v1
	v_cmp_lt_i32_e32 vcc_lo, 5, v10
	v_cmp_ne_u32_e64 s0, v0, v20
	v_lshrrev_b32_e32 v8, 2, v8
	s_delay_alu instid0(VALU_DEP_4) | instskip(SKIP_1) | instid1(VALU_DEP_3)
	v_mul_f16_e32 v19, v41, v12
	s_wait_alu 0xf1ff
	v_cndmask_b32_e64 v0, 0, 1, s0
	v_cmp_eq_u32_e64 s0, 3, v10
	v_and_or_b32 v2, 0x1ff, v3, v2
	v_fmac_f16_e32 v19, v40, v1
	v_bfe_u32 v20, v3, 20, 11
	v_or_b32_e32 v0, v9, v0
	v_add_nc_u32_e32 v13, 0xfffffc10, v22
	s_or_b32 vcc_lo, s0, vcc_lo
	s_wait_alu 0xfffe
	v_add_co_ci_u32_e32 v10, vcc_lo, 0, v8, vcc_lo
	s_delay_alu instid0(VALU_DEP_2)
	v_lshl_or_b32 v9, v13, 12, v15
	v_cmp_gt_i32_e32 vcc_lo, 1, v13
	v_cvt_f32_f16_e32 v8, v19
	v_lshrrev_b32_e32 v19, 8, v3
	v_mul_f64_e32 v[4:5], s[8:9], v[4:5]
	s_wait_alu 0xfffd
	v_cndmask_b32_e32 v0, v9, v0, vcc_lo
	v_cmp_ne_u32_e32 vcc_lo, 0, v2
	v_cvt_f64_f32_e32 v[8:9], v8
	s_delay_alu instid0(VALU_DEP_3)
	v_and_b32_e32 v22, 7, v0
	s_wait_alu 0xfffd
	v_cndmask_b32_e64 v2, 0, 1, vcc_lo
	v_cmp_ne_u32_e32 vcc_lo, 0, v18
	v_lshrrev_b32_e32 v0, 2, v0
	v_cmp_eq_u32_e64 s0, 3, v22
	s_delay_alu instid0(VALU_DEP_4)
	v_and_or_b32 v2, 0xffe, v19, v2
	s_wait_alu 0xfffd
	v_cndmask_b32_e64 v18, 0, 1, vcc_lo
	v_cmp_gt_i32_e32 vcc_lo, 31, v14
	v_sub_nc_u32_e32 v19, 0x3f1, v20
	v_or_b32_e32 v23, 0x1000, v2
	s_delay_alu instid0(VALU_DEP_4) | instskip(SKIP_4) | instid1(VALU_DEP_3)
	v_lshl_or_b32 v18, v18, 9, 0x7c00
	s_wait_alu 0xfffd
	v_cndmask_b32_e32 v10, 0x7c00, v10, vcc_lo
	v_cmp_lt_i32_e32 vcc_lo, 5, v22
	v_med3_i32 v19, v19, 0, 13
	v_cndmask_b32_e64 v10, v10, v18, s1
	s_or_b32 vcc_lo, s0, vcc_lo
	s_delay_alu instid0(VALU_DEP_2)
	v_lshrrev_b32_e32 v14, v19, v23
	s_wait_alu 0xfffe
	v_add_co_ci_u32_e32 v0, vcc_lo, 0, v0, vcc_lo
	v_cmp_ne_u32_e32 vcc_lo, 0, v15
	v_and_or_b32 v10, 0x8000, v11, v10
	v_lshlrev_b32_e32 v18, v19, v14
	v_add_nc_u32_e32 v19, 0xfffffc10, v20
	s_wait_alu 0xfffd
	v_cndmask_b32_e64 v15, 0, 1, vcc_lo
	v_cmp_gt_i32_e32 vcc_lo, 31, v13
	v_and_b32_e32 v10, 0xffff, v10
	v_and_or_b32 v4, 0x1ff, v5, v4
	s_delay_alu instid0(VALU_DEP_4)
	v_lshl_or_b32 v15, v15, 9, 0x7c00
	s_wait_alu 0xfffd
	v_cndmask_b32_e32 v0, 0x7c00, v0, vcc_lo
	v_cmp_ne_u32_e32 vcc_lo, v18, v23
	s_wait_alu 0xfffd
	v_cndmask_b32_e64 v18, 0, 1, vcc_lo
	v_cmp_eq_u32_e32 vcc_lo, 0x40f, v13
	s_delay_alu instid0(VALU_DEP_2)
	v_or_b32_e32 v13, v14, v18
	v_mul_f16_e32 v14, v41, v1
	s_wait_alu 0xfffd
	v_cndmask_b32_e32 v11, v0, v15, vcc_lo
	v_mul_f64_e32 v[0:1], s[8:9], v[8:9]
	v_lshl_or_b32 v8, v19, 12, v2
	v_cmp_gt_i32_e32 vcc_lo, 1, v19
	v_fma_f16 v12, v40, v12, -v14
	v_lshrrev_b32_e32 v9, 16, v17
	v_bfe_u32 v14, v5, 20, 11
	s_wait_dscnt 0x0
	v_lshrrev_b32_e32 v17, 16, v21
	s_wait_alu 0xfffd
	v_cndmask_b32_e32 v13, v8, v13, vcc_lo
	v_cmp_ne_u32_e32 vcc_lo, 0, v4
	v_cvt_f32_f16_e32 v8, v12
	v_lshrrev_b32_e32 v12, 8, v5
	v_and_or_b32 v11, 0x8000, v9, v11
	v_and_b32_e32 v15, 7, v13
	s_wait_alu 0xfffd
	v_cndmask_b32_e64 v4, 0, 1, vcc_lo
	v_cvt_f64_f32_e32 v[8:9], v8
	v_mul_f16_e32 v20, v39, v17
	v_cmp_lt_i32_e32 vcc_lo, 5, v15
	s_delay_alu instid0(VALU_DEP_4)
	v_and_or_b32 v4, 0xffe, v12, v4
	v_sub_nc_u32_e32 v12, 0x3f1, v14
	v_cmp_eq_u32_e64 s0, 3, v15
	v_lshl_or_b32 v15, v11, 16, v10
	v_lshrrev_b32_e32 v10, 2, v13
	v_or_b32_e32 v18, 0x1000, v4
	v_med3_i32 v12, v12, 0, 13
	s_or_b32 vcc_lo, s0, vcc_lo
	v_fmac_f16_e32 v20, v38, v21
	s_wait_alu 0xfffe
	v_add_co_ci_u32_e32 v10, vcc_lo, 0, v10, vcc_lo
	v_lshrrev_b32_e32 v13, v12, v18
	v_cmp_ne_u32_e32 vcc_lo, 0, v2
	v_cvt_f32_f16_e32 v11, v20
	v_add_nc_u32_e32 v14, 0xfffffc10, v14
	s_delay_alu instid0(VALU_DEP_4)
	v_lshlrev_b32_e32 v12, v12, v13
	s_wait_alu 0xfffd
	v_cndmask_b32_e64 v2, 0, 1, vcc_lo
	v_cmp_gt_i32_e32 vcc_lo, 31, v19
	v_and_or_b32 v0, 0x1ff, v1, v0
	v_bfe_u32 v22, v1, 20, 11
	s_delay_alu instid0(VALU_DEP_4)
	v_lshl_or_b32 v2, v2, 9, 0x7c00
	s_wait_alu 0xfffd
	v_cndmask_b32_e32 v20, 0x7c00, v10, vcc_lo
	v_cvt_f64_f32_e32 v[10:11], v11
	v_cmp_ne_u32_e32 vcc_lo, v12, v18
	v_mul_f16_e32 v18, v39, v21
	v_lshrrev_b32_e32 v21, 8, v1
	v_lshrrev_b32_e32 v1, 16, v1
	s_wait_alu 0xfffd
	v_cndmask_b32_e64 v12, 0, 1, vcc_lo
	v_cmp_ne_u32_e32 vcc_lo, 0, v0
	v_mul_f64_e32 v[8:9], s[8:9], v[8:9]
	s_delay_alu instid0(VALU_DEP_3)
	v_or_b32_e32 v12, v13, v12
	s_wait_alu 0xfffd
	v_cndmask_b32_e64 v0, 0, 1, vcc_lo
	v_fma_f16 v13, v38, v17, -v18
	v_lshl_or_b32 v17, v14, 12, v4
	v_cmp_gt_i32_e32 vcc_lo, 1, v14
	v_sub_nc_u32_e32 v18, 0x3f1, v22
	v_and_or_b32 v0, 0xffe, v21, v0
	v_cvt_f32_f16_e32 v13, v13
	s_wait_alu 0xfffd
	v_cndmask_b32_e32 v17, v17, v12, vcc_lo
	v_cmp_eq_u32_e32 vcc_lo, 0x40f, v19
	v_or_b32_e32 v21, 0x1000, v0
	v_med3_i32 v18, v18, 0, 13
	v_cvt_f64_f32_e32 v[12:13], v13
	v_and_b32_e32 v23, 7, v17
	s_wait_alu 0xfffd
	v_cndmask_b32_e32 v19, v20, v2, vcc_lo
	v_add_co_u32 v2, vcc_lo, v6, s2
	v_lshrrev_b32_e32 v24, v18, v21
	v_lshrrev_b32_e32 v20, 16, v3
	s_wait_alu 0xfffd
	v_add_co_ci_u32_e32 v3, vcc_lo, s3, v7, vcc_lo
	v_cmp_lt_i32_e32 vcc_lo, 5, v23
	v_cmp_eq_u32_e64 s0, 3, v23
	v_lshrrev_b32_e32 v17, 2, v17
	v_lshlrev_b32_e32 v18, v18, v24
	v_and_or_b32 v19, 0x8000, v20, v19
	v_mul_f64_e32 v[10:11], s[8:9], v[10:11]
	s_or_b32 vcc_lo, s0, vcc_lo
	v_add_nc_u32_e32 v20, 0xfffffc10, v22
	s_wait_alu 0xfffe
	v_add_co_ci_u32_e32 v17, vcc_lo, 0, v17, vcc_lo
	v_cmp_ne_u32_e64 s1, v18, v21
	v_cmp_ne_u32_e32 vcc_lo, 0, v4
	v_lshl_or_b32 v21, v20, 12, v0
	s_wait_alu 0xf1ff
	s_delay_alu instid0(VALU_DEP_3)
	v_cndmask_b32_e64 v18, 0, 1, s1
	s_wait_alu 0xfffd
	v_cndmask_b32_e64 v4, 0, 1, vcc_lo
	v_cmp_gt_i32_e32 vcc_lo, 31, v14
	v_and_or_b32 v8, 0x1ff, v9, v8
	v_lshrrev_b32_e32 v22, 8, v9
	v_or_b32_e32 v18, v24, v18
	v_lshl_or_b32 v4, v4, 9, 0x7c00
	s_wait_alu 0xfffd
	v_cndmask_b32_e32 v17, 0x7c00, v17, vcc_lo
	v_cmp_gt_i32_e32 vcc_lo, 1, v20
	s_wait_alu 0xfffd
	v_cndmask_b32_e32 v18, v21, v18, vcc_lo
	v_cmp_eq_u32_e32 vcc_lo, 0x40f, v14
	s_wait_alu 0xfffd
	s_delay_alu instid0(VALU_DEP_2)
	v_dual_cndmask_b32 v14, v17, v4 :: v_dual_and_b32 v21, 7, v18
	v_lshrrev_b32_e32 v17, 16, v5
	v_cmp_ne_u32_e32 vcc_lo, 0, v8
	v_mul_f64_e32 v[4:5], s[8:9], v[12:13]
	v_bfe_u32 v12, v9, 20, 11
	v_cmp_eq_u32_e64 s0, 3, v21
	v_and_or_b32 v13, 0x8000, v17, v14
	v_and_b32_e32 v14, 0xffff, v19
	s_wait_alu 0xfffd
	v_cndmask_b32_e64 v8, 0, 1, vcc_lo
	v_cmp_lt_i32_e32 vcc_lo, 5, v21
	v_sub_nc_u32_e32 v17, 0x3f1, v12
	v_and_or_b32 v10, 0x1ff, v11, v10
	v_lshl_or_b32 v13, v13, 16, v14
	v_lshrrev_b32_e32 v14, 2, v18
	v_and_or_b32 v8, 0xffe, v22, v8
	s_or_b32 vcc_lo, s0, vcc_lo
	v_med3_i32 v17, v17, 0, 13
	v_lshrrev_b32_e32 v21, 8, v11
	s_wait_alu 0xfffe
	v_add_co_ci_u32_e32 v14, vcc_lo, 0, v14, vcc_lo
	v_or_b32_e32 v18, 0x1000, v8
	v_cmp_ne_u32_e32 vcc_lo, 0, v0
	v_bfe_u32 v22, v11, 20, 11
	v_add_nc_u32_e32 v12, 0xfffffc10, v12
	v_lshrrev_b32_e32 v9, 16, v9
	v_lshrrev_b32_e32 v19, v17, v18
	s_wait_alu 0xfffd
	v_cndmask_b32_e64 v0, 0, 1, vcc_lo
	v_cmp_gt_i32_e32 vcc_lo, 31, v20
	v_lshrrev_b32_e32 v11, 16, v11
	v_lshlrev_b32_e32 v17, v17, v19
	s_delay_alu instid0(VALU_DEP_4)
	v_lshl_or_b32 v0, v0, 9, 0x7c00
	s_wait_alu 0xfffd
	v_cndmask_b32_e32 v14, 0x7c00, v14, vcc_lo
	v_cmp_ne_u32_e32 vcc_lo, 0, v10
	s_wait_alu 0xfffd
	v_cndmask_b32_e64 v10, 0, 1, vcc_lo
	v_cmp_ne_u32_e32 vcc_lo, v17, v18
	v_sub_nc_u32_e32 v18, 0x3f1, v22
	v_and_or_b32 v4, 0x1ff, v5, v4
	s_delay_alu instid0(VALU_DEP_4)
	v_and_or_b32 v10, 0xffe, v21, v10
	s_wait_alu 0xfffd
	v_cndmask_b32_e64 v17, 0, 1, vcc_lo
	v_cmp_eq_u32_e32 vcc_lo, 0x40f, v20
	v_med3_i32 v18, v18, 0, 13
	v_bfe_u32 v21, v5, 20, 11
	v_lshrrev_b32_e32 v20, 8, v5
	v_lshrrev_b32_e32 v5, 16, v5
	s_wait_alu 0xfffd
	v_cndmask_b32_e32 v0, v14, v0, vcc_lo
	v_or_b32_e32 v14, v19, v17
	v_lshl_or_b32 v17, v12, 12, v8
	v_or_b32_e32 v19, 0x1000, v10
	v_cmp_gt_i32_e32 vcc_lo, 1, v12
	s_wait_alu 0xfffd
	s_delay_alu instid0(VALU_DEP_3) | instskip(NEXT) | instid1(VALU_DEP_3)
	v_cndmask_b32_e32 v14, v17, v14, vcc_lo
	v_lshrrev_b32_e32 v17, v18, v19
	v_cmp_ne_u32_e32 vcc_lo, 0, v4
	s_delay_alu instid0(VALU_DEP_3) | instskip(NEXT) | instid1(VALU_DEP_3)
	v_and_b32_e32 v23, 7, v14
	v_lshlrev_b32_e32 v18, v18, v17
	s_wait_alu 0xfffd
	v_cndmask_b32_e64 v4, 0, 1, vcc_lo
	v_and_or_b32 v0, 0x8000, v1, v0
	v_lshrrev_b32_e32 v14, 2, v14
	v_cmp_lt_i32_e32 vcc_lo, 5, v23
	v_cmp_ne_u32_e64 s0, v18, v19
	v_and_or_b32 v1, 0xffe, v20, v4
	v_sub_nc_u32_e32 v4, 0x3f1, v21
	v_add_nc_u32_e32 v20, 0xfffffc10, v22
	s_wait_alu 0xf1ff
	v_cndmask_b32_e64 v18, 0, 1, s0
	v_cmp_eq_u32_e64 s0, 3, v23
	v_or_b32_e32 v19, 0x1000, v1
	v_med3_i32 v4, v4, 0, 13
	v_lshl_or_b32 v22, v20, 12, v10
	v_or_b32_e32 v17, v17, v18
	s_or_b32 vcc_lo, s0, vcc_lo
	s_wait_alu 0xfffe
	v_add_co_ci_u32_e32 v14, vcc_lo, 0, v14, vcc_lo
	v_lshrrev_b32_e32 v18, v4, v19
	v_cmp_gt_i32_e32 vcc_lo, 1, v20
	s_wait_alu 0xfffd
	s_delay_alu instid0(VALU_DEP_2) | instskip(SKIP_3) | instid1(VALU_DEP_3)
	v_dual_cndmask_b32 v17, v22, v17 :: v_dual_lshlrev_b32 v4, v4, v18
	v_cmp_ne_u32_e32 vcc_lo, 0, v8
	s_wait_alu 0xfffd
	v_cndmask_b32_e64 v8, 0, 1, vcc_lo
	v_cmp_ne_u32_e32 vcc_lo, v4, v19
	v_add_nc_u32_e32 v19, 0xfffffc10, v21
	v_and_b32_e32 v21, 7, v17
	s_delay_alu instid0(VALU_DEP_4)
	v_lshl_or_b32 v8, v8, 9, 0x7c00
	s_wait_alu 0xfffd
	v_cndmask_b32_e64 v4, 0, 1, vcc_lo
	v_cmp_gt_i32_e32 vcc_lo, 31, v12
	v_cmp_gt_i32_e64 s1, 1, v19
	v_cmp_eq_u32_e64 s0, 3, v21
	s_delay_alu instid0(VALU_DEP_4)
	v_or_b32_e32 v4, v18, v4
	v_lshl_or_b32 v18, v19, 12, v1
	s_wait_alu 0xfffd
	v_cndmask_b32_e32 v14, 0x7c00, v14, vcc_lo
	v_cmp_lt_i32_e32 vcc_lo, 5, v21
	s_wait_alu 0xf1ff
	v_cndmask_b32_e64 v4, v18, v4, s1
	v_cmp_eq_u32_e64 s1, 0x40f, v12
	v_lshrrev_b32_e32 v12, 2, v17
	s_or_b32 vcc_lo, s0, vcc_lo
	s_delay_alu instid0(VALU_DEP_2) | instskip(SKIP_1) | instid1(VALU_DEP_2)
	v_cndmask_b32_e64 v8, v14, v8, s1
	s_wait_alu 0xfffe
	v_add_co_ci_u32_e32 v12, vcc_lo, 0, v12, vcc_lo
	v_and_b32_e32 v14, 7, v4
	v_cmp_ne_u32_e32 vcc_lo, 0, v10
	v_lshrrev_b32_e32 v4, 2, v4
	v_cmp_gt_i32_e64 s1, 31, v20
	v_and_or_b32 v8, 0x8000, v9, v8
	v_cmp_eq_u32_e64 s0, 3, v14
	s_wait_alu 0xfffd
	v_cndmask_b32_e64 v10, 0, 1, vcc_lo
	v_cmp_lt_i32_e32 vcc_lo, 5, v14
	s_wait_alu 0xf1ff
	v_cndmask_b32_e64 v12, 0x7c00, v12, s1
	v_and_b32_e32 v9, 0xffff, v0
	v_lshl_or_b32 v10, v10, 9, 0x7c00
	s_or_b32 vcc_lo, s0, vcc_lo
	s_wait_alu 0xfffe
	v_add_co_ci_u32_e32 v4, vcc_lo, 0, v4, vcc_lo
	v_cmp_ne_u32_e32 vcc_lo, 0, v1
	s_wait_alu 0xfffd
	v_cndmask_b32_e64 v1, 0, 1, vcc_lo
	v_cmp_eq_u32_e32 vcc_lo, 0x40f, v20
	s_delay_alu instid0(VALU_DEP_2) | instskip(SKIP_3) | instid1(VALU_DEP_2)
	v_lshl_or_b32 v1, v1, 9, 0x7c00
	s_wait_alu 0xfffd
	v_cndmask_b32_e32 v10, v12, v10, vcc_lo
	v_cmp_gt_i32_e32 vcc_lo, 31, v19
	v_and_or_b32 v10, 0x8000, v11, v10
	s_wait_alu 0xfffd
	v_cndmask_b32_e32 v4, 0x7c00, v4, vcc_lo
	v_cmp_eq_u32_e32 vcc_lo, 0x40f, v19
	v_lshl_or_b32 v11, v8, 16, v9
	s_wait_alu 0xfffd
	s_delay_alu instid0(VALU_DEP_3) | instskip(SKIP_3) | instid1(VALU_DEP_3)
	v_dual_cndmask_b32 v4, v4, v1 :: v_dual_and_b32 v9, 0xffff, v10
	v_add_co_u32 v0, vcc_lo, v2, s2
	s_wait_alu 0xfffd
	v_add_co_ci_u32_e32 v1, vcc_lo, s3, v3, vcc_lo
	v_and_or_b32 v8, 0x8000, v5, v4
	s_delay_alu instid0(VALU_DEP_3) | instskip(SKIP_1) | instid1(VALU_DEP_3)
	v_add_co_u32 v4, vcc_lo, v0, s2
	s_wait_alu 0xfffd
	v_add_co_ci_u32_e32 v5, vcc_lo, s3, v1, vcc_lo
	s_delay_alu instid0(VALU_DEP_3) | instskip(NEXT) | instid1(VALU_DEP_3)
	v_lshl_or_b32 v10, v8, 16, v9
	v_add_co_u32 v8, vcc_lo, v4, s2
	s_wait_alu 0xfffd
	s_delay_alu instid0(VALU_DEP_3)
	v_add_co_ci_u32_e32 v9, vcc_lo, s3, v5, vcc_lo
	s_clause 0x3
	global_store_b32 v[6:7], v16, off
	global_store_b32 v[2:3], v15, off
	;; [unrolled: 1-line block ×5, first 2 shown]
.LBB0_10:
	s_nop 0
	s_sendmsg sendmsg(MSG_DEALLOC_VGPRS)
	s_endpgm
	.section	.rodata,"a",@progbits
	.p2align	6, 0x0
	.amdhsa_kernel bluestein_single_back_len96_dim1_half_op_CI_CI
		.amdhsa_group_segment_fixed_size 3072
		.amdhsa_private_segment_fixed_size 0
		.amdhsa_kernarg_size 104
		.amdhsa_user_sgpr_count 2
		.amdhsa_user_sgpr_dispatch_ptr 0
		.amdhsa_user_sgpr_queue_ptr 0
		.amdhsa_user_sgpr_kernarg_segment_ptr 1
		.amdhsa_user_sgpr_dispatch_id 0
		.amdhsa_user_sgpr_private_segment_size 0
		.amdhsa_wavefront_size32 1
		.amdhsa_uses_dynamic_stack 0
		.amdhsa_enable_private_segment 0
		.amdhsa_system_sgpr_workgroup_id_x 1
		.amdhsa_system_sgpr_workgroup_id_y 0
		.amdhsa_system_sgpr_workgroup_id_z 0
		.amdhsa_system_sgpr_workgroup_info 0
		.amdhsa_system_vgpr_workitem_id 0
		.amdhsa_next_free_vgpr 113
		.amdhsa_next_free_sgpr 20
		.amdhsa_reserve_vcc 1
		.amdhsa_float_round_mode_32 0
		.amdhsa_float_round_mode_16_64 0
		.amdhsa_float_denorm_mode_32 3
		.amdhsa_float_denorm_mode_16_64 3
		.amdhsa_fp16_overflow 0
		.amdhsa_workgroup_processor_mode 1
		.amdhsa_memory_ordered 1
		.amdhsa_forward_progress 0
		.amdhsa_round_robin_scheduling 0
		.amdhsa_exception_fp_ieee_invalid_op 0
		.amdhsa_exception_fp_denorm_src 0
		.amdhsa_exception_fp_ieee_div_zero 0
		.amdhsa_exception_fp_ieee_overflow 0
		.amdhsa_exception_fp_ieee_underflow 0
		.amdhsa_exception_fp_ieee_inexact 0
		.amdhsa_exception_int_div_zero 0
	.end_amdhsa_kernel
	.text
.Lfunc_end0:
	.size	bluestein_single_back_len96_dim1_half_op_CI_CI, .Lfunc_end0-bluestein_single_back_len96_dim1_half_op_CI_CI
                                        ; -- End function
	.section	.AMDGPU.csdata,"",@progbits
; Kernel info:
; codeLenInByte = 9784
; NumSgprs: 22
; NumVgprs: 113
; ScratchSize: 0
; MemoryBound: 0
; FloatMode: 240
; IeeeMode: 1
; LDSByteSize: 3072 bytes/workgroup (compile time only)
; SGPRBlocks: 2
; VGPRBlocks: 14
; NumSGPRsForWavesPerEU: 22
; NumVGPRsForWavesPerEU: 113
; Occupancy: 12
; WaveLimiterHint : 1
; COMPUTE_PGM_RSRC2:SCRATCH_EN: 0
; COMPUTE_PGM_RSRC2:USER_SGPR: 2
; COMPUTE_PGM_RSRC2:TRAP_HANDLER: 0
; COMPUTE_PGM_RSRC2:TGID_X_EN: 1
; COMPUTE_PGM_RSRC2:TGID_Y_EN: 0
; COMPUTE_PGM_RSRC2:TGID_Z_EN: 0
; COMPUTE_PGM_RSRC2:TIDIG_COMP_CNT: 0
	.text
	.p2alignl 7, 3214868480
	.fill 96, 4, 3214868480
	.type	__hip_cuid_47c84e4875f3e317,@object ; @__hip_cuid_47c84e4875f3e317
	.section	.bss,"aw",@nobits
	.globl	__hip_cuid_47c84e4875f3e317
__hip_cuid_47c84e4875f3e317:
	.byte	0                               ; 0x0
	.size	__hip_cuid_47c84e4875f3e317, 1

	.ident	"AMD clang version 19.0.0git (https://github.com/RadeonOpenCompute/llvm-project roc-6.4.0 25133 c7fe45cf4b819c5991fe208aaa96edf142730f1d)"
	.section	".note.GNU-stack","",@progbits
	.addrsig
	.addrsig_sym __hip_cuid_47c84e4875f3e317
	.amdgpu_metadata
---
amdhsa.kernels:
  - .args:
      - .actual_access:  read_only
        .address_space:  global
        .offset:         0
        .size:           8
        .value_kind:     global_buffer
      - .actual_access:  read_only
        .address_space:  global
        .offset:         8
        .size:           8
        .value_kind:     global_buffer
      - .actual_access:  read_only
        .address_space:  global
        .offset:         16
        .size:           8
        .value_kind:     global_buffer
      - .actual_access:  read_only
        .address_space:  global
        .offset:         24
        .size:           8
        .value_kind:     global_buffer
      - .actual_access:  read_only
        .address_space:  global
        .offset:         32
        .size:           8
        .value_kind:     global_buffer
      - .offset:         40
        .size:           8
        .value_kind:     by_value
      - .address_space:  global
        .offset:         48
        .size:           8
        .value_kind:     global_buffer
      - .address_space:  global
        .offset:         56
        .size:           8
        .value_kind:     global_buffer
      - .address_space:  global
        .offset:         64
        .size:           8
        .value_kind:     global_buffer
      - .address_space:  global
        .offset:         72
        .size:           8
        .value_kind:     global_buffer
      - .offset:         80
        .size:           4
        .value_kind:     by_value
      - .address_space:  global
        .offset:         88
        .size:           8
        .value_kind:     global_buffer
      - .address_space:  global
        .offset:         96
        .size:           8
        .value_kind:     global_buffer
    .group_segment_fixed_size: 3072
    .kernarg_segment_align: 8
    .kernarg_segment_size: 104
    .language:       OpenCL C
    .language_version:
      - 2
      - 0
    .max_flat_workgroup_size: 128
    .name:           bluestein_single_back_len96_dim1_half_op_CI_CI
    .private_segment_fixed_size: 0
    .sgpr_count:     22
    .sgpr_spill_count: 0
    .symbol:         bluestein_single_back_len96_dim1_half_op_CI_CI.kd
    .uniform_work_group_size: 1
    .uses_dynamic_stack: false
    .vgpr_count:     113
    .vgpr_spill_count: 0
    .wavefront_size: 32
    .workgroup_processor_mode: 1
amdhsa.target:   amdgcn-amd-amdhsa--gfx1201
amdhsa.version:
  - 1
  - 2
...

	.end_amdgpu_metadata
